;; amdgpu-corpus repo=pytorch/pytorch kind=compiled arch=gfx1250 opt=O3
	.amdgcn_target "amdgcn-amd-amdhsa--gfx1250"
	.amdhsa_code_object_version 6
	.section	.text._ZN2at4cuda12_GLOBAL__N_111spin_kernelEl,"axG",@progbits,_ZN2at4cuda12_GLOBAL__N_111spin_kernelEl,comdat
	.globl	_ZN2at4cuda12_GLOBAL__N_111spin_kernelEl ; -- Begin function _ZN2at4cuda12_GLOBAL__N_111spin_kernelEl
	.p2align	8
	.type	_ZN2at4cuda12_GLOBAL__N_111spin_kernelEl,@function
_ZN2at4cuda12_GLOBAL__N_111spin_kernelEl: ; @_ZN2at4cuda12_GLOBAL__N_111spin_kernelEl
; %bb.0:
	s_load_b64 s[0:1], s[0:1], 0x0
	s_wait_kmcnt 0x0
	v_cmp_lt_i64_e64 s2, s[0:1], 1
	s_and_b32 vcc_lo, exec_lo, s2
	s_get_shader_cycles_u64 s[2:3]
	s_cbranch_vccnz .LBB0_2
.LBB0_1:                                ; =>This Inner Loop Header: Depth=1
	s_get_shader_cycles_u64 s[4:5]
	s_delay_alu instid0(SALU_CYCLE_1) | instskip(NEXT) | instid1(SALU_CYCLE_1)
	s_sub_nc_u64 s[4:5], s[4:5], s[2:3]
	v_cmp_lt_i64_e64 s4, s[4:5], s[0:1]
	s_and_b32 vcc_lo, exec_lo, s4
	s_cbranch_vccnz .LBB0_1
.LBB0_2:
	s_endpgm
	.section	.rodata,"a",@progbits
	.p2align	6, 0x0
	.amdhsa_kernel _ZN2at4cuda12_GLOBAL__N_111spin_kernelEl
		.amdhsa_group_segment_fixed_size 0
		.amdhsa_private_segment_fixed_size 0
		.amdhsa_kernarg_size 8
		.amdhsa_user_sgpr_count 2
		.amdhsa_user_sgpr_dispatch_ptr 0
		.amdhsa_user_sgpr_queue_ptr 0
		.amdhsa_user_sgpr_kernarg_segment_ptr 1
		.amdhsa_user_sgpr_dispatch_id 0
		.amdhsa_user_sgpr_kernarg_preload_length 0
		.amdhsa_user_sgpr_kernarg_preload_offset 0
		.amdhsa_user_sgpr_private_segment_size 0
		.amdhsa_wavefront_size32 1
		.amdhsa_uses_dynamic_stack 0
		.amdhsa_enable_private_segment 0
		.amdhsa_system_sgpr_workgroup_id_x 1
		.amdhsa_system_sgpr_workgroup_id_y 0
		.amdhsa_system_sgpr_workgroup_id_z 0
		.amdhsa_system_sgpr_workgroup_info 0
		.amdhsa_system_vgpr_workitem_id 0
		.amdhsa_next_free_vgpr 1
		.amdhsa_next_free_sgpr 6
		.amdhsa_named_barrier_count 0
		.amdhsa_reserve_vcc 1
		.amdhsa_float_round_mode_32 0
		.amdhsa_float_round_mode_16_64 0
		.amdhsa_float_denorm_mode_32 3
		.amdhsa_float_denorm_mode_16_64 3
		.amdhsa_fp16_overflow 0
		.amdhsa_memory_ordered 1
		.amdhsa_forward_progress 1
		.amdhsa_inst_pref_size 1
		.amdhsa_round_robin_scheduling 0
		.amdhsa_exception_fp_ieee_invalid_op 0
		.amdhsa_exception_fp_denorm_src 0
		.amdhsa_exception_fp_ieee_div_zero 0
		.amdhsa_exception_fp_ieee_overflow 0
		.amdhsa_exception_fp_ieee_underflow 0
		.amdhsa_exception_fp_ieee_inexact 0
		.amdhsa_exception_int_div_zero 0
	.end_amdhsa_kernel
	.section	.text._ZN2at4cuda12_GLOBAL__N_111spin_kernelEl,"axG",@progbits,_ZN2at4cuda12_GLOBAL__N_111spin_kernelEl,comdat
.Lfunc_end0:
	.size	_ZN2at4cuda12_GLOBAL__N_111spin_kernelEl, .Lfunc_end0-_ZN2at4cuda12_GLOBAL__N_111spin_kernelEl
                                        ; -- End function
	.set _ZN2at4cuda12_GLOBAL__N_111spin_kernelEl.num_vgpr, 0
	.set _ZN2at4cuda12_GLOBAL__N_111spin_kernelEl.num_agpr, 0
	.set _ZN2at4cuda12_GLOBAL__N_111spin_kernelEl.numbered_sgpr, 6
	.set _ZN2at4cuda12_GLOBAL__N_111spin_kernelEl.num_named_barrier, 0
	.set _ZN2at4cuda12_GLOBAL__N_111spin_kernelEl.private_seg_size, 0
	.set _ZN2at4cuda12_GLOBAL__N_111spin_kernelEl.uses_vcc, 1
	.set _ZN2at4cuda12_GLOBAL__N_111spin_kernelEl.uses_flat_scratch, 0
	.set _ZN2at4cuda12_GLOBAL__N_111spin_kernelEl.has_dyn_sized_stack, 0
	.set _ZN2at4cuda12_GLOBAL__N_111spin_kernelEl.has_recursion, 0
	.set _ZN2at4cuda12_GLOBAL__N_111spin_kernelEl.has_indirect_call, 0
	.section	.AMDGPU.csdata,"",@progbits
; Kernel info:
; codeLenInByte = 64
; TotalNumSgprs: 8
; NumVgprs: 0
; ScratchSize: 0
; MemoryBound: 0
; FloatMode: 240
; IeeeMode: 1
; LDSByteSize: 0 bytes/workgroup (compile time only)
; SGPRBlocks: 0
; VGPRBlocks: 0
; NumSGPRsForWavesPerEU: 8
; NumVGPRsForWavesPerEU: 1
; NamedBarCnt: 0
; Occupancy: 16
; WaveLimiterHint : 0
; COMPUTE_PGM_RSRC2:SCRATCH_EN: 0
; COMPUTE_PGM_RSRC2:USER_SGPR: 2
; COMPUTE_PGM_RSRC2:TRAP_HANDLER: 0
; COMPUTE_PGM_RSRC2:TGID_X_EN: 1
; COMPUTE_PGM_RSRC2:TGID_Y_EN: 0
; COMPUTE_PGM_RSRC2:TGID_Z_EN: 0
; COMPUTE_PGM_RSRC2:TIDIG_COMP_CNT: 0
	.text
	.protected	_ZN2at4cuda19flush_icache_kernelEv ; -- Begin function _ZN2at4cuda19flush_icache_kernelEv
	.globl	_ZN2at4cuda19flush_icache_kernelEv
	.p2align	8
	.type	_ZN2at4cuda19flush_icache_kernelEv,@function
_ZN2at4cuda19flush_icache_kernelEv:     ; @_ZN2at4cuda19flush_icache_kernelEv
; %bb.0:
	;;#ASMSTART
	s_icache_inv 
	s_nop 0 
	s_nop 0 
	;; [unrolled: 1-line block ×16, first 2 shown]
	
	;;#ASMEND
	s_endpgm
	.section	.rodata,"a",@progbits
	.p2align	6, 0x0
	.amdhsa_kernel _ZN2at4cuda19flush_icache_kernelEv
		.amdhsa_group_segment_fixed_size 0
		.amdhsa_private_segment_fixed_size 0
		.amdhsa_kernarg_size 0
		.amdhsa_user_sgpr_count 0
		.amdhsa_user_sgpr_dispatch_ptr 0
		.amdhsa_user_sgpr_queue_ptr 0
		.amdhsa_user_sgpr_kernarg_segment_ptr 0
		.amdhsa_user_sgpr_dispatch_id 0
		.amdhsa_user_sgpr_kernarg_preload_length 0
		.amdhsa_user_sgpr_kernarg_preload_offset 0
		.amdhsa_user_sgpr_private_segment_size 0
		.amdhsa_wavefront_size32 1
		.amdhsa_uses_dynamic_stack 0
		.amdhsa_enable_private_segment 0
		.amdhsa_system_sgpr_workgroup_id_x 1
		.amdhsa_system_sgpr_workgroup_id_y 0
		.amdhsa_system_sgpr_workgroup_id_z 0
		.amdhsa_system_sgpr_workgroup_info 0
		.amdhsa_system_vgpr_workitem_id 0
		.amdhsa_next_free_vgpr 1
		.amdhsa_next_free_sgpr 1
		.amdhsa_named_barrier_count 0
		.amdhsa_reserve_vcc 0
		.amdhsa_float_round_mode_32 0
		.amdhsa_float_round_mode_16_64 0
		.amdhsa_float_denorm_mode_32 3
		.amdhsa_float_denorm_mode_16_64 3
		.amdhsa_fp16_overflow 0
		.amdhsa_memory_ordered 1
		.amdhsa_forward_progress 1
		.amdhsa_inst_pref_size 1
		.amdhsa_round_robin_scheduling 0
		.amdhsa_exception_fp_ieee_invalid_op 0
		.amdhsa_exception_fp_denorm_src 0
		.amdhsa_exception_fp_ieee_div_zero 0
		.amdhsa_exception_fp_ieee_overflow 0
		.amdhsa_exception_fp_ieee_underflow 0
		.amdhsa_exception_fp_ieee_inexact 0
		.amdhsa_exception_int_div_zero 0
	.end_amdhsa_kernel
	.text
.Lfunc_end1:
	.size	_ZN2at4cuda19flush_icache_kernelEv, .Lfunc_end1-_ZN2at4cuda19flush_icache_kernelEv
                                        ; -- End function
	.set _ZN2at4cuda19flush_icache_kernelEv.num_vgpr, 0
	.set _ZN2at4cuda19flush_icache_kernelEv.num_agpr, 0
	.set _ZN2at4cuda19flush_icache_kernelEv.numbered_sgpr, 0
	.set _ZN2at4cuda19flush_icache_kernelEv.num_named_barrier, 0
	.set _ZN2at4cuda19flush_icache_kernelEv.private_seg_size, 0
	.set _ZN2at4cuda19flush_icache_kernelEv.uses_vcc, 0
	.set _ZN2at4cuda19flush_icache_kernelEv.uses_flat_scratch, 0
	.set _ZN2at4cuda19flush_icache_kernelEv.has_dyn_sized_stack, 0
	.set _ZN2at4cuda19flush_icache_kernelEv.has_recursion, 0
	.set _ZN2at4cuda19flush_icache_kernelEv.has_indirect_call, 0
	.section	.AMDGPU.csdata,"",@progbits
; Kernel info:
; codeLenInByte = 4
; TotalNumSgprs: 0
; NumVgprs: 0
; ScratchSize: 0
; MemoryBound: 0
; FloatMode: 240
; IeeeMode: 1
; LDSByteSize: 0 bytes/workgroup (compile time only)
; SGPRBlocks: 0
; VGPRBlocks: 0
; NumSGPRsForWavesPerEU: 1
; NumVGPRsForWavesPerEU: 1
; NamedBarCnt: 0
; Occupancy: 16
; WaveLimiterHint : 0
; COMPUTE_PGM_RSRC2:SCRATCH_EN: 0
; COMPUTE_PGM_RSRC2:USER_SGPR: 0
; COMPUTE_PGM_RSRC2:TRAP_HANDLER: 0
; COMPUTE_PGM_RSRC2:TGID_X_EN: 1
; COMPUTE_PGM_RSRC2:TGID_Y_EN: 0
; COMPUTE_PGM_RSRC2:TGID_Z_EN: 0
; COMPUTE_PGM_RSRC2:TIDIG_COMP_CNT: 0
	.text
	.p2alignl 7, 3214868480
	.fill 96, 4, 3214868480
	.section	.AMDGPU.gpr_maximums,"",@progbits
	.set amdgpu.max_num_vgpr, 0
	.set amdgpu.max_num_agpr, 0
	.set amdgpu.max_num_sgpr, 0
	.text
	.type	__hip_cuid_21025b8de1036d0d,@object ; @__hip_cuid_21025b8de1036d0d
	.section	.bss,"aw",@nobits
	.globl	__hip_cuid_21025b8de1036d0d
__hip_cuid_21025b8de1036d0d:
	.byte	0                               ; 0x0
	.size	__hip_cuid_21025b8de1036d0d, 1

	.ident	"AMD clang version 22.0.0git (https://github.com/RadeonOpenCompute/llvm-project roc-7.2.4 26084 f58b06dce1f9c15707c5f808fd002e18c2accf7e)"
	.section	".note.GNU-stack","",@progbits
	.addrsig
	.addrsig_sym __hip_cuid_21025b8de1036d0d
	.amdgpu_metadata
---
amdhsa.kernels:
  - .args:
      - .offset:         0
        .size:           8
        .value_kind:     by_value
    .group_segment_fixed_size: 0
    .kernarg_segment_align: 8
    .kernarg_segment_size: 8
    .language:       OpenCL C
    .language_version:
      - 2
      - 0
    .max_flat_workgroup_size: 1024
    .name:           _ZN2at4cuda12_GLOBAL__N_111spin_kernelEl
    .private_segment_fixed_size: 0
    .sgpr_count:     8
    .sgpr_spill_count: 0
    .symbol:         _ZN2at4cuda12_GLOBAL__N_111spin_kernelEl.kd
    .uniform_work_group_size: 1
    .uses_dynamic_stack: false
    .vgpr_count:     0
    .vgpr_spill_count: 0
    .wavefront_size: 32
  - .args:           []
    .group_segment_fixed_size: 0
    .kernarg_segment_align: 4
    .kernarg_segment_size: 0
    .language:       OpenCL C
    .language_version:
      - 2
      - 0
    .max_flat_workgroup_size: 1024
    .name:           _ZN2at4cuda19flush_icache_kernelEv
    .private_segment_fixed_size: 0
    .sgpr_count:     0
    .sgpr_spill_count: 0
    .symbol:         _ZN2at4cuda19flush_icache_kernelEv.kd
    .uniform_work_group_size: 1
    .uses_dynamic_stack: false
    .vgpr_count:     0
    .vgpr_spill_count: 0
    .wavefront_size: 32
amdhsa.target:   amdgcn-amd-amdhsa--gfx1250
amdhsa.version:
  - 1
  - 2
...

	.end_amdgpu_metadata
